;; amdgpu-corpus repo=ROCm/rocFFT kind=compiled arch=gfx1100 opt=O3
	.text
	.amdgcn_target "amdgcn-amd-amdhsa--gfx1100"
	.amdhsa_code_object_version 6
	.protected	fft_rtc_back_len784_factors_2_2_2_2_7_7_wgs_56_tpt_56_halfLds_sp_op_CI_CI_sbrr_dirReg ; -- Begin function fft_rtc_back_len784_factors_2_2_2_2_7_7_wgs_56_tpt_56_halfLds_sp_op_CI_CI_sbrr_dirReg
	.globl	fft_rtc_back_len784_factors_2_2_2_2_7_7_wgs_56_tpt_56_halfLds_sp_op_CI_CI_sbrr_dirReg
	.p2align	8
	.type	fft_rtc_back_len784_factors_2_2_2_2_7_7_wgs_56_tpt_56_halfLds_sp_op_CI_CI_sbrr_dirReg,@function
fft_rtc_back_len784_factors_2_2_2_2_7_7_wgs_56_tpt_56_halfLds_sp_op_CI_CI_sbrr_dirReg: ; @fft_rtc_back_len784_factors_2_2_2_2_7_7_wgs_56_tpt_56_halfLds_sp_op_CI_CI_sbrr_dirReg
; %bb.0:
	s_clause 0x2
	s_load_b128 s[16:19], s[0:1], 0x18
	s_load_b128 s[8:11], s[0:1], 0x0
	;; [unrolled: 1-line block ×3, first 2 shown]
	v_mul_u32_u24_e32 v1, 0x493, v0
	v_mov_b32_e32 v7, 0
	v_mov_b32_e32 v5, 0
	;; [unrolled: 1-line block ×3, first 2 shown]
	s_waitcnt lgkmcnt(0)
	s_load_b64 s[20:21], s[16:17], 0x0
	s_load_b64 s[12:13], s[18:19], 0x0
	v_lshrrev_b32_e32 v1, 16, v1
	v_cmp_lt_u64_e64 s2, s[10:11], 2
	s_delay_alu instid0(VALU_DEP_2) | instskip(NEXT) | instid1(VALU_DEP_2)
	v_dual_mov_b32 v10, v7 :: v_dual_add_nc_u32 v9, s15, v1
	s_and_b32 vcc_lo, exec_lo, s2
	s_cbranch_vccnz .LBB0_8
; %bb.1:
	s_load_b64 s[2:3], s[0:1], 0x10
	v_mov_b32_e32 v5, 0
	v_mov_b32_e32 v6, 0
	s_add_u32 s14, s18, 8
	s_addc_u32 s15, s19, 0
	s_add_u32 s22, s16, 8
	s_delay_alu instid0(VALU_DEP_1)
	v_dual_mov_b32 v1, v5 :: v_dual_mov_b32 v2, v6
	s_addc_u32 s23, s17, 0
	s_mov_b64 s[26:27], 1
	s_waitcnt lgkmcnt(0)
	s_add_u32 s24, s2, 8
	s_addc_u32 s25, s3, 0
.LBB0_2:                                ; =>This Inner Loop Header: Depth=1
	s_load_b64 s[28:29], s[24:25], 0x0
                                        ; implicit-def: $vgpr3_vgpr4
	s_mov_b32 s2, exec_lo
	s_waitcnt lgkmcnt(0)
	v_or_b32_e32 v8, s29, v10
	s_delay_alu instid0(VALU_DEP_1)
	v_cmpx_ne_u64_e32 0, v[7:8]
	s_xor_b32 s3, exec_lo, s2
	s_cbranch_execz .LBB0_4
; %bb.3:                                ;   in Loop: Header=BB0_2 Depth=1
	v_cvt_f32_u32_e32 v3, s28
	v_cvt_f32_u32_e32 v4, s29
	s_sub_u32 s2, 0, s28
	s_subb_u32 s30, 0, s29
	s_delay_alu instid0(VALU_DEP_1) | instskip(NEXT) | instid1(VALU_DEP_1)
	v_fmac_f32_e32 v3, 0x4f800000, v4
	v_rcp_f32_e32 v3, v3
	s_waitcnt_depctr 0xfff
	v_mul_f32_e32 v3, 0x5f7ffffc, v3
	s_delay_alu instid0(VALU_DEP_1) | instskip(NEXT) | instid1(VALU_DEP_1)
	v_mul_f32_e32 v4, 0x2f800000, v3
	v_trunc_f32_e32 v4, v4
	s_delay_alu instid0(VALU_DEP_1) | instskip(SKIP_1) | instid1(VALU_DEP_2)
	v_fmac_f32_e32 v3, 0xcf800000, v4
	v_cvt_u32_f32_e32 v4, v4
	v_cvt_u32_f32_e32 v3, v3
	s_delay_alu instid0(VALU_DEP_2) | instskip(NEXT) | instid1(VALU_DEP_2)
	v_mul_lo_u32 v8, s2, v4
	v_mul_hi_u32 v11, s2, v3
	v_mul_lo_u32 v12, s30, v3
	s_delay_alu instid0(VALU_DEP_2) | instskip(SKIP_1) | instid1(VALU_DEP_2)
	v_add_nc_u32_e32 v8, v11, v8
	v_mul_lo_u32 v11, s2, v3
	v_add_nc_u32_e32 v8, v8, v12
	s_delay_alu instid0(VALU_DEP_2) | instskip(NEXT) | instid1(VALU_DEP_2)
	v_mul_hi_u32 v12, v3, v11
	v_mul_lo_u32 v13, v3, v8
	v_mul_hi_u32 v14, v3, v8
	v_mul_hi_u32 v15, v4, v11
	v_mul_lo_u32 v11, v4, v11
	v_mul_hi_u32 v16, v4, v8
	v_mul_lo_u32 v8, v4, v8
	v_add_co_u32 v12, vcc_lo, v12, v13
	v_add_co_ci_u32_e32 v13, vcc_lo, 0, v14, vcc_lo
	s_delay_alu instid0(VALU_DEP_2) | instskip(NEXT) | instid1(VALU_DEP_2)
	v_add_co_u32 v11, vcc_lo, v12, v11
	v_add_co_ci_u32_e32 v11, vcc_lo, v13, v15, vcc_lo
	v_add_co_ci_u32_e32 v12, vcc_lo, 0, v16, vcc_lo
	s_delay_alu instid0(VALU_DEP_2) | instskip(NEXT) | instid1(VALU_DEP_2)
	v_add_co_u32 v8, vcc_lo, v11, v8
	v_add_co_ci_u32_e32 v11, vcc_lo, 0, v12, vcc_lo
	s_delay_alu instid0(VALU_DEP_2) | instskip(NEXT) | instid1(VALU_DEP_2)
	v_add_co_u32 v3, vcc_lo, v3, v8
	v_add_co_ci_u32_e32 v4, vcc_lo, v4, v11, vcc_lo
	s_delay_alu instid0(VALU_DEP_2) | instskip(SKIP_1) | instid1(VALU_DEP_3)
	v_mul_hi_u32 v8, s2, v3
	v_mul_lo_u32 v12, s30, v3
	v_mul_lo_u32 v11, s2, v4
	s_delay_alu instid0(VALU_DEP_1) | instskip(SKIP_1) | instid1(VALU_DEP_2)
	v_add_nc_u32_e32 v8, v8, v11
	v_mul_lo_u32 v11, s2, v3
	v_add_nc_u32_e32 v8, v8, v12
	s_delay_alu instid0(VALU_DEP_2) | instskip(NEXT) | instid1(VALU_DEP_2)
	v_mul_hi_u32 v12, v3, v11
	v_mul_lo_u32 v13, v3, v8
	v_mul_hi_u32 v14, v3, v8
	v_mul_hi_u32 v15, v4, v11
	v_mul_lo_u32 v11, v4, v11
	v_mul_hi_u32 v16, v4, v8
	v_mul_lo_u32 v8, v4, v8
	v_add_co_u32 v12, vcc_lo, v12, v13
	v_add_co_ci_u32_e32 v13, vcc_lo, 0, v14, vcc_lo
	s_delay_alu instid0(VALU_DEP_2) | instskip(NEXT) | instid1(VALU_DEP_2)
	v_add_co_u32 v11, vcc_lo, v12, v11
	v_add_co_ci_u32_e32 v11, vcc_lo, v13, v15, vcc_lo
	v_add_co_ci_u32_e32 v12, vcc_lo, 0, v16, vcc_lo
	s_delay_alu instid0(VALU_DEP_2) | instskip(NEXT) | instid1(VALU_DEP_2)
	v_add_co_u32 v8, vcc_lo, v11, v8
	v_add_co_ci_u32_e32 v11, vcc_lo, 0, v12, vcc_lo
	s_delay_alu instid0(VALU_DEP_2) | instskip(NEXT) | instid1(VALU_DEP_2)
	v_add_co_u32 v8, vcc_lo, v3, v8
	v_add_co_ci_u32_e32 v15, vcc_lo, v4, v11, vcc_lo
	s_delay_alu instid0(VALU_DEP_2) | instskip(SKIP_1) | instid1(VALU_DEP_3)
	v_mul_hi_u32 v16, v9, v8
	v_mad_u64_u32 v[11:12], null, v10, v8, 0
	v_mad_u64_u32 v[3:4], null, v9, v15, 0
	;; [unrolled: 1-line block ×3, first 2 shown]
	s_delay_alu instid0(VALU_DEP_2) | instskip(NEXT) | instid1(VALU_DEP_3)
	v_add_co_u32 v3, vcc_lo, v16, v3
	v_add_co_ci_u32_e32 v4, vcc_lo, 0, v4, vcc_lo
	s_delay_alu instid0(VALU_DEP_2) | instskip(NEXT) | instid1(VALU_DEP_2)
	v_add_co_u32 v3, vcc_lo, v3, v11
	v_add_co_ci_u32_e32 v3, vcc_lo, v4, v12, vcc_lo
	v_add_co_ci_u32_e32 v4, vcc_lo, 0, v14, vcc_lo
	s_delay_alu instid0(VALU_DEP_2) | instskip(NEXT) | instid1(VALU_DEP_2)
	v_add_co_u32 v8, vcc_lo, v3, v13
	v_add_co_ci_u32_e32 v11, vcc_lo, 0, v4, vcc_lo
	s_delay_alu instid0(VALU_DEP_2) | instskip(SKIP_1) | instid1(VALU_DEP_3)
	v_mul_lo_u32 v12, s29, v8
	v_mad_u64_u32 v[3:4], null, s28, v8, 0
	v_mul_lo_u32 v13, s28, v11
	s_delay_alu instid0(VALU_DEP_2) | instskip(NEXT) | instid1(VALU_DEP_2)
	v_sub_co_u32 v3, vcc_lo, v9, v3
	v_add3_u32 v4, v4, v13, v12
	s_delay_alu instid0(VALU_DEP_1) | instskip(NEXT) | instid1(VALU_DEP_1)
	v_sub_nc_u32_e32 v12, v10, v4
	v_subrev_co_ci_u32_e64 v12, s2, s29, v12, vcc_lo
	v_add_co_u32 v13, s2, v8, 2
	s_delay_alu instid0(VALU_DEP_1) | instskip(SKIP_3) | instid1(VALU_DEP_3)
	v_add_co_ci_u32_e64 v14, s2, 0, v11, s2
	v_sub_co_u32 v15, s2, v3, s28
	v_sub_co_ci_u32_e32 v4, vcc_lo, v10, v4, vcc_lo
	v_subrev_co_ci_u32_e64 v12, s2, 0, v12, s2
	v_cmp_le_u32_e32 vcc_lo, s28, v15
	s_delay_alu instid0(VALU_DEP_3) | instskip(SKIP_1) | instid1(VALU_DEP_4)
	v_cmp_eq_u32_e64 s2, s29, v4
	v_cndmask_b32_e64 v15, 0, -1, vcc_lo
	v_cmp_le_u32_e32 vcc_lo, s29, v12
	v_cndmask_b32_e64 v16, 0, -1, vcc_lo
	v_cmp_le_u32_e32 vcc_lo, s28, v3
	;; [unrolled: 2-line block ×3, first 2 shown]
	v_cndmask_b32_e64 v17, 0, -1, vcc_lo
	v_cmp_eq_u32_e32 vcc_lo, s29, v12
	s_delay_alu instid0(VALU_DEP_2) | instskip(SKIP_3) | instid1(VALU_DEP_3)
	v_cndmask_b32_e64 v3, v17, v3, s2
	v_cndmask_b32_e32 v12, v16, v15, vcc_lo
	v_add_co_u32 v15, vcc_lo, v8, 1
	v_add_co_ci_u32_e32 v16, vcc_lo, 0, v11, vcc_lo
	v_cmp_ne_u32_e32 vcc_lo, 0, v12
	s_delay_alu instid0(VALU_DEP_2) | instskip(NEXT) | instid1(VALU_DEP_4)
	v_cndmask_b32_e32 v4, v16, v14, vcc_lo
	v_cndmask_b32_e32 v12, v15, v13, vcc_lo
	v_cmp_ne_u32_e32 vcc_lo, 0, v3
	s_delay_alu instid0(VALU_DEP_3) | instskip(NEXT) | instid1(VALU_DEP_3)
	v_cndmask_b32_e32 v4, v11, v4, vcc_lo
	v_cndmask_b32_e32 v3, v8, v12, vcc_lo
.LBB0_4:                                ;   in Loop: Header=BB0_2 Depth=1
	s_and_not1_saveexec_b32 s2, s3
	s_cbranch_execz .LBB0_6
; %bb.5:                                ;   in Loop: Header=BB0_2 Depth=1
	v_cvt_f32_u32_e32 v3, s28
	s_sub_i32 s3, 0, s28
	s_delay_alu instid0(VALU_DEP_1) | instskip(SKIP_2) | instid1(VALU_DEP_1)
	v_rcp_iflag_f32_e32 v3, v3
	s_waitcnt_depctr 0xfff
	v_mul_f32_e32 v3, 0x4f7ffffe, v3
	v_cvt_u32_f32_e32 v3, v3
	s_delay_alu instid0(VALU_DEP_1) | instskip(NEXT) | instid1(VALU_DEP_1)
	v_mul_lo_u32 v4, s3, v3
	v_mul_hi_u32 v4, v3, v4
	s_delay_alu instid0(VALU_DEP_1) | instskip(NEXT) | instid1(VALU_DEP_1)
	v_add_nc_u32_e32 v3, v3, v4
	v_mul_hi_u32 v3, v9, v3
	s_delay_alu instid0(VALU_DEP_1) | instskip(SKIP_1) | instid1(VALU_DEP_2)
	v_mul_lo_u32 v4, v3, s28
	v_add_nc_u32_e32 v8, 1, v3
	v_sub_nc_u32_e32 v4, v9, v4
	s_delay_alu instid0(VALU_DEP_1) | instskip(SKIP_1) | instid1(VALU_DEP_2)
	v_subrev_nc_u32_e32 v11, s28, v4
	v_cmp_le_u32_e32 vcc_lo, s28, v4
	v_dual_cndmask_b32 v4, v4, v11 :: v_dual_cndmask_b32 v3, v3, v8
	s_delay_alu instid0(VALU_DEP_1) | instskip(NEXT) | instid1(VALU_DEP_2)
	v_cmp_le_u32_e32 vcc_lo, s28, v4
	v_add_nc_u32_e32 v8, 1, v3
	v_mov_b32_e32 v4, v7
	s_delay_alu instid0(VALU_DEP_2)
	v_cndmask_b32_e32 v3, v3, v8, vcc_lo
.LBB0_6:                                ;   in Loop: Header=BB0_2 Depth=1
	s_or_b32 exec_lo, exec_lo, s2
	s_delay_alu instid0(VALU_DEP_2) | instskip(NEXT) | instid1(VALU_DEP_2)
	v_mul_lo_u32 v8, v4, s28
	v_mul_lo_u32 v13, v3, s29
	s_load_b64 s[2:3], s[22:23], 0x0
	v_mad_u64_u32 v[11:12], null, v3, s28, 0
	s_load_b64 s[28:29], s[14:15], 0x0
	s_add_u32 s26, s26, 1
	s_addc_u32 s27, s27, 0
	s_add_u32 s14, s14, 8
	s_addc_u32 s15, s15, 0
	s_add_u32 s22, s22, 8
	s_delay_alu instid0(VALU_DEP_1) | instskip(SKIP_3) | instid1(VALU_DEP_2)
	v_add3_u32 v8, v12, v13, v8
	v_sub_co_u32 v12, vcc_lo, v9, v11
	s_addc_u32 s23, s23, 0
	s_add_u32 s24, s24, 8
	v_sub_co_ci_u32_e32 v10, vcc_lo, v10, v8, vcc_lo
	s_addc_u32 s25, s25, 0
	s_waitcnt lgkmcnt(0)
	s_delay_alu instid0(VALU_DEP_1)
	v_mul_lo_u32 v13, s2, v10
	v_mul_lo_u32 v14, s3, v12
	v_mad_u64_u32 v[8:9], null, s2, v12, v[5:6]
	v_mul_lo_u32 v15, s28, v10
	v_mul_lo_u32 v16, s29, v12
	v_mad_u64_u32 v[10:11], null, s28, v12, v[1:2]
	v_cmp_ge_u64_e64 s2, s[26:27], s[10:11]
	v_add3_u32 v6, v14, v9, v13
	v_mov_b32_e32 v5, v8
	s_delay_alu instid0(VALU_DEP_4)
	v_add3_u32 v2, v16, v11, v15
	v_mov_b32_e32 v1, v10
	s_and_b32 vcc_lo, exec_lo, s2
	s_cbranch_vccnz .LBB0_9
; %bb.7:                                ;   in Loop: Header=BB0_2 Depth=1
	v_dual_mov_b32 v10, v4 :: v_dual_mov_b32 v9, v3
	s_branch .LBB0_2
.LBB0_8:
	v_dual_mov_b32 v1, v5 :: v_dual_mov_b32 v2, v6
	s_delay_alu instid0(VALU_DEP_2)
	v_dual_mov_b32 v3, v9 :: v_dual_mov_b32 v4, v10
.LBB0_9:
	s_load_b64 s[0:1], s[0:1], 0x28
	v_mul_hi_u32 v11, 0x4924925, v0
	s_lshl_b64 s[10:11], s[10:11], 3
                                        ; implicit-def: $sgpr14_sgpr15
                                        ; implicit-def: $vgpr35
                                        ; implicit-def: $vgpr36
                                        ; implicit-def: $vgpr37
                                        ; implicit-def: $vgpr38
                                        ; implicit-def: $vgpr39
                                        ; implicit-def: $vgpr40
                                        ; implicit-def: $vgpr41
	s_delay_alu instid0(SALU_CYCLE_1) | instskip(SKIP_4) | instid1(VALU_DEP_1)
	s_add_u32 s2, s18, s10
	s_addc_u32 s3, s19, s11
	s_waitcnt lgkmcnt(0)
	v_cmp_gt_u64_e32 vcc_lo, s[0:1], v[3:4]
	v_cmp_le_u64_e64 s0, s[0:1], v[3:4]
	s_and_saveexec_b32 s1, s0
	s_delay_alu instid0(SALU_CYCLE_1)
	s_xor_b32 s0, exec_lo, s1
; %bb.10:
	v_mul_u32_u24_e32 v5, 56, v11
	s_mov_b64 s[14:15], 0
                                        ; implicit-def: $vgpr11
	s_delay_alu instid0(VALU_DEP_1) | instskip(NEXT) | instid1(VALU_DEP_1)
	v_sub_nc_u32_e32 v35, v0, v5
                                        ; implicit-def: $vgpr0
                                        ; implicit-def: $vgpr5_vgpr6
	v_add_nc_u32_e32 v36, 56, v35
	v_add_nc_u32_e32 v37, 0x70, v35
	;; [unrolled: 1-line block ×6, first 2 shown]
; %bb.11:
	s_or_saveexec_b32 s1, s0
	v_dual_mov_b32 v7, s14 :: v_dual_mov_b32 v8, s15
	v_dual_mov_b32 v9, s14 :: v_dual_mov_b32 v10, s15
	;; [unrolled: 1-line block ×7, first 2 shown]
                                        ; implicit-def: $vgpr12
                                        ; implicit-def: $vgpr20
                                        ; implicit-def: $vgpr34
                                        ; implicit-def: $vgpr32
                                        ; implicit-def: $vgpr30
                                        ; implicit-def: $vgpr22
                                        ; implicit-def: $vgpr14
	s_xor_b32 exec_lo, exec_lo, s1
	s_cbranch_execz .LBB0_13
; %bb.12:
	s_add_u32 s10, s16, s10
	s_addc_u32 s11, s17, s11
	v_mul_u32_u24_e32 v7, 56, v11
	s_load_b64 s[10:11], s[10:11], 0x0
	v_lshlrev_b64 v[5:6], 3, v[5:6]
	s_delay_alu instid0(VALU_DEP_2) | instskip(NEXT) | instid1(VALU_DEP_1)
	v_sub_nc_u32_e32 v35, v0, v7
	v_mad_u64_u32 v[7:8], null, s20, v35, 0
	v_add_nc_u32_e32 v20, 0x188, v35
	v_add_nc_u32_e32 v36, 56, v35
	v_or_b32_e32 v21, 0x1c0, v35
	v_add_nc_u32_e32 v26, 0x230, v35
	v_add_nc_u32_e32 v37, 0x70, v35
	v_mad_u64_u32 v[9:10], null, s20, v20, 0
	v_mad_u64_u32 v[11:12], null, s20, v36, 0
	s_waitcnt lgkmcnt(0)
	v_mul_lo_u32 v22, s11, v3
	v_mul_lo_u32 v23, s10, v4
	v_mad_u64_u32 v[13:14], null, s10, v3, 0
	v_mov_b32_e32 v0, v8
	v_mad_u64_u32 v[24:25], null, s20, v26, 0
	v_mov_b32_e32 v8, v12
	v_add_nc_u32_e32 v38, 0xa8, v35
	s_delay_alu instid0(VALU_DEP_4) | instskip(SKIP_4) | instid1(VALU_DEP_4)
	v_mad_u64_u32 v[15:16], null, s21, v35, v[0:1]
	v_mov_b32_e32 v0, v10
	v_add3_u32 v14, v14, v23, v22
	v_mad_u64_u32 v[16:17], null, s20, v21, 0
	v_add_nc_u32_e32 v39, 0xe0, v35
	v_mad_u64_u32 v[18:19], null, s21, v20, v[0:1]
	v_mad_u64_u32 v[19:20], null, s21, v36, v[8:9]
	v_lshlrev_b64 v[13:14], 3, v[13:14]
	v_mov_b32_e32 v0, v17
	v_add_nc_u32_e32 v22, 0x1f8, v35
	v_mov_b32_e32 v8, v15
	v_mov_b32_e32 v10, v18
	v_add_nc_u32_e32 v32, 0x268, v35
	v_add_co_u32 v13, s0, s4, v13
	v_mov_b32_e32 v12, v19
	v_add_co_ci_u32_e64 v14, s0, s5, v14, s0
	s_delay_alu instid0(VALU_DEP_3) | instskip(SKIP_1) | instid1(VALU_DEP_3)
	v_add_co_u32 v34, s0, v13, v5
	v_mad_u64_u32 v[18:19], null, s20, v37, 0
	v_add_co_ci_u32_e64 v45, s0, v14, v6, s0
	v_lshlrev_b64 v[5:6], 3, v[11:12]
	v_mad_u64_u32 v[11:12], null, s21, v21, v[0:1]
	v_mad_u64_u32 v[20:21], null, s20, v22, 0
	v_lshlrev_b64 v[7:8], 3, v[7:8]
	v_dual_mov_b32 v0, v19 :: v_dual_add_nc_u32 v41, 0x150, v35
	v_lshlrev_b64 v[9:10], 3, v[9:10]
	v_dual_mov_b32 v17, v11 :: v_dual_add_nc_u32 v40, 0x118, v35
	v_mov_b32_e32 v11, v21
	s_delay_alu instid0(VALU_DEP_4) | instskip(NEXT) | instid1(VALU_DEP_3)
	v_mad_u64_u32 v[14:15], null, s21, v37, v[0:1]
	v_lshlrev_b64 v[12:13], 3, v[16:17]
	v_add_co_u32 v7, s0, v34, v7
	s_delay_alu instid0(VALU_DEP_1) | instskip(SKIP_1) | instid1(VALU_DEP_4)
	v_add_co_ci_u32_e64 v8, s0, v45, v8, s0
	v_add_co_u32 v9, s0, v34, v9
	v_mad_u64_u32 v[15:16], null, s21, v22, v[11:12]
	v_mad_u64_u32 v[22:23], null, s20, v38, 0
	v_add_co_ci_u32_e64 v10, s0, v45, v10, s0
	v_add_co_u32 v5, s0, v34, v5
	s_delay_alu instid0(VALU_DEP_1) | instskip(NEXT) | instid1(VALU_DEP_4)
	v_add_co_ci_u32_e64 v6, s0, v45, v6, s0
	v_dual_mov_b32 v19, v14 :: v_dual_mov_b32 v0, v23
	v_add_co_u32 v16, s0, v34, v12
	s_delay_alu instid0(VALU_DEP_1)
	v_add_co_ci_u32_e64 v17, s0, v45, v13, s0
	s_clause 0x3
	global_load_b64 v[7:8], v[7:8], off
	global_load_b64 v[11:12], v[9:10], off
	;; [unrolled: 1-line block ×4, first 2 shown]
	v_lshlrev_b64 v[5:6], 3, v[18:19]
	v_mad_u64_u32 v[18:19], null, s21, v38, v[0:1]
	v_mov_b32_e32 v21, v15
	v_mov_b32_e32 v17, v25
	v_mad_u64_u32 v[30:31], null, s20, v40, 0
	v_add_co_u32 v5, s0, v34, v5
	s_delay_alu instid0(VALU_DEP_4) | instskip(NEXT) | instid1(VALU_DEP_4)
	v_lshlrev_b64 v[15:16], 3, v[20:21]
	v_mad_u64_u32 v[19:20], null, s21, v26, v[17:18]
	v_mad_u64_u32 v[26:27], null, s20, v39, 0
	v_dual_mov_b32 v23, v18 :: v_dual_add_nc_u32 v42, 0x2a0, v35
	v_add_co_ci_u32_e64 v6, s0, v45, v6, s0
	s_delay_alu instid0(VALU_DEP_4) | instskip(NEXT) | instid1(VALU_DEP_3)
	v_mov_b32_e32 v25, v19
	v_lshlrev_b64 v[17:18], 3, v[22:23]
	v_mov_b32_e32 v0, v27
	v_add_co_u32 v15, s0, v34, v15
	s_delay_alu instid0(VALU_DEP_4) | instskip(SKIP_1) | instid1(VALU_DEP_4)
	v_lshlrev_b64 v[19:20], 3, v[24:25]
	v_mad_u64_u32 v[23:24], null, s20, v32, 0
	v_mad_u64_u32 v[21:22], null, s21, v39, v[0:1]
	v_add_co_ci_u32_e64 v16, s0, v45, v16, s0
	v_add_co_u32 v28, s0, v34, v17
	s_delay_alu instid0(VALU_DEP_4) | instskip(SKIP_3) | instid1(VALU_DEP_4)
	v_mov_b32_e32 v0, v24
	v_add_co_ci_u32_e64 v29, s0, v45, v18, s0
	v_mov_b32_e32 v27, v21
	v_add_co_u32 v19, s0, v34, v19
	v_mad_u64_u32 v[24:25], null, s21, v32, v[0:1]
	v_mad_u64_u32 v[32:33], null, s20, v42, 0
	v_mov_b32_e32 v0, v31
	v_add_co_ci_u32_e64 v20, s0, v45, v20, s0
	s_clause 0x3
	global_load_b64 v[17:18], v[5:6], off
	global_load_b64 v[21:22], v[15:16], off
	;; [unrolled: 1-line block ×4, first 2 shown]
	v_lshlrev_b64 v[5:6], 3, v[26:27]
	v_mad_u64_u32 v[25:26], null, s21, v40, v[0:1]
	v_mov_b32_e32 v0, v33
	v_add_nc_u32_e32 v44, 0x2d8, v35
	v_mad_u64_u32 v[26:27], null, s20, v41, 0
	v_lshlrev_b64 v[23:24], 3, v[23:24]
	s_delay_alu instid0(VALU_DEP_4) | instskip(NEXT) | instid1(VALU_DEP_4)
	v_mad_u64_u32 v[28:29], null, s21, v42, v[0:1]
	v_mad_u64_u32 v[42:43], null, s20, v44, 0
	s_delay_alu instid0(VALU_DEP_4) | instskip(SKIP_1) | instid1(VALU_DEP_4)
	v_dual_mov_b32 v31, v25 :: v_dual_mov_b32 v0, v27
	v_add_co_u32 v5, s0, v34, v5
	v_mov_b32_e32 v33, v28
	v_add_co_ci_u32_e64 v6, s0, v45, v6, s0
	s_delay_alu instid0(VALU_DEP_4) | instskip(SKIP_3) | instid1(VALU_DEP_1)
	v_mad_u64_u32 v[27:28], null, s21, v41, v[0:1]
	v_mov_b32_e32 v0, v43
	v_lshlrev_b64 v[28:29], 3, v[30:31]
	v_add_co_u32 v23, s0, v34, v23
	v_add_co_ci_u32_e64 v24, s0, v45, v24, s0
	s_delay_alu instid0(VALU_DEP_4) | instskip(SKIP_2) | instid1(VALU_DEP_1)
	v_mad_u64_u32 v[30:31], null, s21, v44, v[0:1]
	v_lshlrev_b64 v[31:32], 3, v[32:33]
	v_add_co_u32 v28, s0, v34, v28
	v_add_co_ci_u32_e64 v29, s0, v45, v29, s0
	v_lshlrev_b64 v[25:26], 3, v[26:27]
	v_mov_b32_e32 v43, v30
	v_add_co_u32 v30, s0, v34, v31
	s_delay_alu instid0(VALU_DEP_1) | instskip(NEXT) | instid1(VALU_DEP_3)
	v_add_co_ci_u32_e64 v31, s0, v45, v32, s0
	v_lshlrev_b64 v[32:33], 3, v[42:43]
	v_add_co_u32 v42, s0, v34, v25
	s_delay_alu instid0(VALU_DEP_1) | instskip(NEXT) | instid1(VALU_DEP_3)
	v_add_co_ci_u32_e64 v43, s0, v45, v26, s0
	v_add_co_u32 v44, s0, v34, v32
	s_delay_alu instid0(VALU_DEP_1)
	v_add_co_ci_u32_e64 v45, s0, v45, v33, s0
	s_clause 0x5
	global_load_b64 v[25:26], v[5:6], off
	global_load_b64 v[33:34], v[23:24], off
	;; [unrolled: 1-line block ×6, first 2 shown]
.LBB0_13:
	s_or_b32 exec_lo, exec_lo, s1
	s_waitcnt vmcnt(12)
	v_dual_sub_f32 v6, v7, v11 :: v_dual_sub_f32 v43, v8, v12
	s_waitcnt vmcnt(10)
	v_dual_sub_f32 v12, v9, v13 :: v_dual_sub_f32 v45, v10, v14
	;; [unrolled: 2-line block ×3, first 2 shown]
	v_fma_f32 v42, v8, 2.0, -v43
	v_dual_sub_f32 v8, v17, v21 :: v_dual_sub_f32 v47, v18, v22
	v_fma_f32 v44, v10, 2.0, -v45
	s_waitcnt vmcnt(4)
	v_dual_sub_f32 v10, v25, v33 :: v_dual_sub_f32 v33, v26, v34
	v_fma_f32 v5, v7, 2.0, -v6
	v_lshl_add_u32 v0, v35, 3, 0
	v_lshlrev_b32_e32 v19, 2, v35
	v_fma_f32 v11, v9, 2.0, -v12
	v_fma_f32 v13, v15, 2.0, -v14
	v_lshl_add_u32 v15, v36, 3, 0
	v_fma_f32 v7, v17, 2.0, -v8
	v_fma_f32 v48, v16, 2.0, -v49
	v_lshl_add_u32 v16, v37, 3, 0
	s_waitcnt vmcnt(2)
	v_sub_f32_e32 v51, v28, v32
	v_fma_f32 v32, v26, 2.0, -v33
	s_waitcnt vmcnt(0)
	v_sub_f32_e32 v26, v23, v29
	s_load_b64 s[0:1], s[2:3], 0x0
	ds_store_b64 v0, v[5:6]
	ds_store_b64 v15, v[11:12]
	;; [unrolled: 1-line block ×3, first 2 shown]
	v_sub_nc_u32_e32 v5, v0, v19
	v_sub_f32_e32 v21, v27, v31
	v_fma_f32 v46, v18, 2.0, -v47
	v_fma_f32 v9, v25, 2.0, -v10
	;; [unrolled: 1-line block ×3, first 2 shown]
	v_lshl_add_u32 v29, v38, 3, 0
	v_lshl_add_u32 v18, v41, 3, 0
	;; [unrolled: 1-line block ×3, first 2 shown]
	v_add_nc_u32_e32 v11, 0x400, v5
	v_fma_f32 v50, v28, 2.0, -v51
	v_sub_f32_e32 v28, v24, v30
	v_fma_f32 v20, v27, 2.0, -v21
	v_lshl_add_u32 v30, v40, 3, 0
	ds_store_b64 v29, v[13:14]
	ds_store_b64 v17, v[9:10]
	;; [unrolled: 1-line block ×4, first 2 shown]
	s_waitcnt lgkmcnt(0)
	s_barrier
	buffer_gl0_inv
	ds_load_b32 v58, v5
	ds_load_2addr_b32 v[52:53], v11 offset0:136 offset1:192
	v_add_nc_u32_e32 v6, 0x600, v5
	v_lshlrev_b32_e32 v21, 2, v37
	v_lshlrev_b32_e32 v7, 2, v38
	;; [unrolled: 1-line block ×4, first 2 shown]
	ds_load_2addr_b32 v[54:55], v6 offset0:120 offset1:176
	v_and_b32_e32 v34, 1, v35
	v_lshlrev_b32_e32 v23, 2, v41
	v_fma_f32 v27, v24, 2.0, -v28
	v_lshlrev_b32_e32 v20, 2, v36
	v_sub_nc_u32_e32 v24, v16, v21
	v_add_nc_u32_e32 v13, 0x800, v5
	v_lshlrev_b32_e32 v14, 3, v34
	v_sub_nc_u32_e32 v9, v29, v7
	v_sub_nc_u32_e32 v7, v17, v22
	;; [unrolled: 1-line block ×5, first 2 shown]
	ds_load_2addr_b32 v[56:57], v13 offset0:104 offset1:160
	ds_load_b32 v59, v24
	ds_load_b32 v60, v9
	;; [unrolled: 1-line block ×6, first 2 shown]
	ds_load_b32 v65, v5 offset:2912
	s_waitcnt lgkmcnt(0)
	s_barrier
	buffer_gl0_inv
	ds_store_b64 v0, v[42:43]
	ds_store_b64 v15, v[44:45]
	;; [unrolled: 1-line block ×7, first 2 shown]
	s_waitcnt lgkmcnt(0)
	s_barrier
	buffer_gl0_inv
	global_load_b64 v[31:32], v14, s[8:9]
	v_lshlrev_b32_e32 v14, 1, v35
	v_lshlrev_b32_e32 v25, 1, v36
	;; [unrolled: 1-line block ×7, first 2 shown]
	v_and_b32_e32 v41, 3, v35
	s_waitcnt vmcnt(0)
	v_mul_f32_e32 v77, v54, v32
	v_mul_f32_e32 v81, v56, v32
	v_and_or_b32 v33, 0x7c, v14, v34
	v_and_or_b32 v37, 0xfc, v25, v34
	v_mul_f32_e32 v83, v57, v32
	v_and_or_b32 v38, 0x1fc, v26, v34
	v_and_or_b32 v42, 0x1fc, v27, v34
	;; [unrolled: 1-line block ×5, first 2 shown]
	v_lshl_add_u32 v47, v33, 2, 0
	ds_load_2addr_b32 v[33:34], v11 offset0:136 offset1:192
	v_lshl_add_u32 v48, v37, 2, 0
	v_lshl_add_u32 v49, v38, 2, 0
	v_mul_f32_e32 v73, v52, v32
	ds_load_b32 v50, v5
	ds_load_2addr_b32 v[37:38], v6 offset0:120 offset1:176
	ds_load_2addr_b32 v[39:40], v13 offset0:104 offset1:160
	ds_load_b32 v51, v24
	ds_load_b32 v66, v9
	;; [unrolled: 1-line block ×6, first 2 shown]
	ds_load_b32 v71, v5 offset:2912
	v_mul_f32_e32 v75, v53, v32
	v_mul_f32_e32 v79, v55, v32
	v_lshl_add_u32 v42, v42, 2, 0
	v_lshl_add_u32 v43, v43, 2, 0
	;; [unrolled: 1-line block ×4, first 2 shown]
	s_waitcnt lgkmcnt(0)
	s_barrier
	buffer_gl0_inv
	v_mul_f32_e32 v76, v37, v32
	v_mul_f32_e32 v78, v38, v32
	;; [unrolled: 1-line block ×6, first 2 shown]
	v_fma_f32 v33, v33, v31, -v73
	v_fma_f32 v34, v34, v31, -v75
	v_mul_f32_e32 v84, v71, v32
	v_mul_f32_e32 v32, v65, v32
	v_fmac_f32_e32 v72, v52, v31
	v_fmac_f32_e32 v74, v53, v31
	v_fma_f32 v37, v37, v31, -v77
	v_fmac_f32_e32 v84, v65, v31
	v_fmac_f32_e32 v76, v54, v31
	;; [unrolled: 1-line block ×3, first 2 shown]
	v_fma_f32 v38, v38, v31, -v79
	v_fmac_f32_e32 v80, v56, v31
	v_fma_f32 v39, v39, v31, -v81
	v_fmac_f32_e32 v82, v57, v31
	v_fma_f32 v40, v40, v31, -v83
	v_fma_f32 v31, v71, v31, -v32
	v_sub_f32_e32 v32, v58, v72
	v_dual_sub_f32 v52, v50, v33 :: v_dual_sub_f32 v33, v64, v74
	v_dual_sub_f32 v53, v70, v34 :: v_dual_sub_f32 v54, v51, v37
	v_sub_f32_e32 v57, v63, v84
	v_dual_sub_f32 v34, v59, v76 :: v_dual_sub_f32 v37, v60, v78
	v_dual_sub_f32 v55, v66, v38 :: v_dual_lshlrev_b32 v46, 3, v41
	v_dual_sub_f32 v39, v67, v39 :: v_dual_sub_f32 v38, v61, v80
	v_sub_f32_e32 v56, v62, v82
	v_dual_sub_f32 v40, v68, v40 :: v_dual_sub_f32 v65, v69, v31
	v_fma_f32 v31, v58, 2.0, -v32
	v_fma_f32 v50, v50, 2.0, -v52
	;; [unrolled: 1-line block ×14, first 2 shown]
	ds_store_2addr_b32 v47, v31, v32 offset1:2
	ds_store_2addr_b32 v48, v58, v33 offset1:2
	;; [unrolled: 1-line block ×7, first 2 shown]
	s_waitcnt lgkmcnt(0)
	s_barrier
	buffer_gl0_inv
	ds_load_b32 v56, v5
	ds_load_2addr_b32 v[31:32], v11 offset0:136 offset1:192
	ds_load_2addr_b32 v[33:34], v6 offset0:120 offset1:176
	;; [unrolled: 1-line block ×3, first 2 shown]
	ds_load_b32 v57, v24
	ds_load_b32 v58, v9
	;; [unrolled: 1-line block ×6, first 2 shown]
	ds_load_b32 v63, v5 offset:2912
	s_waitcnt lgkmcnt(0)
	s_barrier
	buffer_gl0_inv
	ds_store_2addr_b32 v47, v50, v52 offset1:2
	ds_store_2addr_b32 v48, v64, v53 offset1:2
	;; [unrolled: 1-line block ×7, first 2 shown]
	s_waitcnt lgkmcnt(0)
	s_barrier
	buffer_gl0_inv
	global_load_b64 v[39:40], v46, s[8:9] offset:16
	v_and_or_b32 v42, 0x78, v14, v41
	v_and_or_b32 v43, 0xf8, v25, v41
	v_and_or_b32 v44, 0x1f8, v26, v41
	v_and_or_b32 v48, 0x1f8, v27, v41
	v_and_or_b32 v49, 0x3f8, v28, v41
	v_and_or_b32 v50, 0x2f8, v29, v41
	v_and_or_b32 v51, 0x3f8, v30, v41
	v_lshl_add_u32 v53, v42, 2, 0
	ds_load_2addr_b32 v[41:42], v11 offset0:136 offset1:192
	v_lshl_add_u32 v54, v43, 2, 0
	v_lshl_add_u32 v55, v44, 2, 0
	ds_load_b32 v64, v5
	ds_load_2addr_b32 v[43:44], v6 offset0:120 offset1:176
	ds_load_2addr_b32 v[45:46], v13 offset0:104 offset1:160
	ds_load_b32 v65, v24
	ds_load_b32 v66, v9
	;; [unrolled: 1-line block ×6, first 2 shown]
	ds_load_b32 v71, v5 offset:2912
	v_and_b32_e32 v47, 7, v35
	v_lshl_add_u32 v48, v48, 2, 0
	v_lshl_add_u32 v49, v49, 2, 0
	;; [unrolled: 1-line block ×4, first 2 shown]
	s_waitcnt vmcnt(0) lgkmcnt(0)
	s_barrier
	buffer_gl0_inv
	v_and_or_b32 v25, 0xf0, v25, v47
	v_and_or_b32 v27, 0x1f0, v27, v47
	;; [unrolled: 1-line block ×3, first 2 shown]
	s_delay_alu instid0(VALU_DEP_1) | instskip(SKIP_4) | instid1(VALU_DEP_4)
	v_lshl_add_u32 v14, v14, 2, 0
	v_mul_f32_e32 v80, v45, v40
	v_mul_f32_e32 v81, v37, v40
	;; [unrolled: 1-line block ×4, first 2 shown]
	v_dual_mul_f32 v75, v32, v40 :: v_dual_fmac_f32 v80, v37, v39
	s_delay_alu instid0(VALU_DEP_4)
	v_fma_f32 v37, v45, v39, -v81
	v_mul_f32_e32 v72, v41, v40
	v_fmac_f32_e32 v82, v38, v39
	v_mul_f32_e32 v74, v42, v40
	v_mul_f32_e32 v76, v43, v40
	;; [unrolled: 1-line block ×8, first 2 shown]
	v_sub_f32_e32 v45, v67, v37
	v_fmac_f32_e32 v72, v31, v39
	v_fma_f32 v31, v41, v39, -v73
	v_sub_f32_e32 v37, v60, v82
	v_fmac_f32_e32 v74, v32, v39
	v_fma_f32 v32, v42, v39, -v75
	v_fmac_f32_e32 v76, v33, v39
	v_fma_f32 v33, v43, v39, -v77
	;; [unrolled: 2-line block ×3, first 2 shown]
	v_fma_f32 v38, v46, v39, -v83
	v_fmac_f32_e32 v84, v63, v39
	v_fma_f32 v39, v71, v39, -v40
	v_sub_f32_e32 v40, v56, v72
	v_sub_f32_e32 v41, v64, v31
	;; [unrolled: 1-line block ×5, first 2 shown]
	v_dual_sub_f32 v43, v65, v33 :: v_dual_lshlrev_b32 v52, 3, v47
	v_sub_f32_e32 v33, v58, v78
	v_sub_f32_e32 v44, v66, v34
	;; [unrolled: 1-line block ×6, first 2 shown]
	v_fma_f32 v56, v56, 2.0, -v40
	v_fma_f32 v63, v64, 2.0, -v41
	;; [unrolled: 1-line block ×14, first 2 shown]
	ds_store_2addr_b32 v53, v56, v40 offset1:4
	ds_store_2addr_b32 v54, v62, v31 offset1:4
	;; [unrolled: 1-line block ×7, first 2 shown]
	s_waitcnt lgkmcnt(0)
	s_barrier
	buffer_gl0_inv
	ds_load_b32 v56, v5
	ds_load_2addr_b32 v[31:32], v11 offset0:136 offset1:192
	ds_load_2addr_b32 v[33:34], v6 offset0:120 offset1:176
	;; [unrolled: 1-line block ×3, first 2 shown]
	ds_load_b32 v57, v24
	ds_load_b32 v58, v9
	;; [unrolled: 1-line block ×6, first 2 shown]
	ds_load_b32 v70, v5 offset:2912
	s_waitcnt lgkmcnt(0)
	s_barrier
	buffer_gl0_inv
	ds_store_2addr_b32 v53, v63, v41 offset1:4
	ds_store_2addr_b32 v54, v64, v42 offset1:4
	;; [unrolled: 1-line block ×7, first 2 shown]
	s_waitcnt lgkmcnt(0)
	s_barrier
	buffer_gl0_inv
	global_load_b64 v[39:40], v52, s[8:9] offset:48
	v_and_or_b32 v41, 0x1f0, v26, v47
	v_lshl_add_u32 v46, v25, 2, 0
	ds_load_2addr_b32 v[25:26], v11 offset0:136 offset1:192
	v_and_or_b32 v42, 0x3f0, v28, v47
	v_and_or_b32 v43, 0x2f0, v29, v47
	;; [unrolled: 1-line block ×3, first 2 shown]
	v_lshl_add_u32 v47, v27, 2, 0
	ds_load_b32 v48, v5
	ds_load_2addr_b32 v[27:28], v6 offset0:120 offset1:176
	ds_load_2addr_b32 v[29:30], v13 offset0:104 offset1:160
	ds_load_b32 v6, v24
	ds_load_b32 v9, v9
	;; [unrolled: 1-line block ×6, first 2 shown]
	ds_load_b32 v52, v5 offset:2912
	v_lshl_add_u32 v41, v41, 2, 0
	v_lshl_add_u32 v42, v42, 2, 0
	;; [unrolled: 1-line block ×4, first 2 shown]
	s_waitcnt vmcnt(0) lgkmcnt(0)
	s_barrier
	buffer_gl0_inv
	v_and_b32_e32 v63, 15, v35
	s_delay_alu instid0(VALU_DEP_1) | instskip(NEXT) | instid1(VALU_DEP_1)
	v_mul_u32_u24_e32 v45, 6, v63
	v_lshlrev_b32_e32 v45, 3, v45
	v_mul_f32_e32 v53, v25, v40
	v_mul_f32_e32 v55, v26, v40
	;; [unrolled: 1-line block ×13, first 2 shown]
	v_dual_mul_f32 v40, v70, v40 :: v_dual_fmac_f32 v53, v31, v39
	v_fmac_f32_e32 v55, v32, v39
	v_fmac_f32_e32 v68, v34, v39
	;; [unrolled: 1-line block ×3, first 2 shown]
	v_fma_f32 v28, v28, v39, -v69
	v_fmac_f32_e32 v71, v37, v39
	v_fmac_f32_e32 v73, v38, v39
	v_sub_f32_e32 v37, v58, v68
	v_fma_f32 v30, v30, v39, -v74
	v_fmac_f32_e32 v75, v70, v39
	v_fma_f32 v31, v52, v39, -v40
	v_dual_sub_f32 v32, v56, v53 :: v_dual_sub_f32 v33, v62, v55
	v_sub_f32_e32 v34, v57, v66
	v_fma_f32 v26, v26, v39, -v65
	v_fma_f32 v27, v27, v39, -v67
	;; [unrolled: 1-line block ×3, first 2 shown]
	v_sub_f32_e32 v28, v9, v28
	v_sub_f32_e32 v38, v59, v71
	;; [unrolled: 1-line block ×5, first 2 shown]
	v_fma_f32 v25, v25, v39, -v54
	v_sub_f32_e32 v39, v60, v73
	v_fma_f32 v52, v56, 2.0, -v32
	v_fma_f32 v53, v62, 2.0, -v33
	;; [unrolled: 1-line block ×4, first 2 shown]
	v_sub_f32_e32 v25, v48, v25
	v_fma_f32 v62, v9, 2.0, -v28
	v_fma_f32 v9, v59, 2.0, -v38
	;; [unrolled: 1-line block ×5, first 2 shown]
	ds_store_2addr_b32 v14, v52, v32 offset1:8
	ds_store_2addr_b32 v46, v53, v33 offset1:8
	;; [unrolled: 1-line block ×7, first 2 shown]
	s_waitcnt lgkmcnt(0)
	s_barrier
	buffer_gl0_inv
	ds_load_2addr_b32 v[9:10], v5 offset1:168
	ds_load_b32 v69, v7
	ds_load_b32 v70, v8
	ds_load_2addr_b32 v[33:34], v11 offset0:192 offset1:248
	ds_load_2addr_b32 v[53:54], v13 offset0:48 offset1:104
	;; [unrolled: 1-line block ×3, first 2 shown]
	ds_load_b32 v71, v24
	ds_load_b32 v72, v12
	ds_load_2addr_b32 v[57:58], v11 offset0:24 offset1:136
	v_dual_sub_f32 v26, v51, v26 :: v_dual_sub_f32 v27, v6, v27
	v_dual_sub_f32 v29, v49, v29 :: v_dual_and_b32 v64, 15, v36
	v_fma_f32 v48, v48, 2.0, -v25
	s_delay_alu instid0(VALU_DEP_3) | instskip(NEXT) | instid1(VALU_DEP_4)
	v_fma_f32 v51, v51, 2.0, -v26
	v_fma_f32 v6, v6, 2.0, -v27
	;; [unrolled: 1-line block ×4, first 2 shown]
	s_waitcnt lgkmcnt(0)
	s_barrier
	buffer_gl0_inv
	ds_store_2addr_b32 v14, v48, v25 offset1:8
	ds_store_2addr_b32 v46, v51, v26 offset1:8
	;; [unrolled: 1-line block ×7, first 2 shown]
	v_mul_u32_u24_e32 v6, 6, v64
	s_waitcnt lgkmcnt(0)
	s_barrier
	buffer_gl0_inv
	s_clause 0x1
	global_load_b128 v[25:28], v45, s[8:9] offset:112
	global_load_b128 v[29:32], v45, s[8:9] offset:128
	v_lshlrev_b32_e32 v6, 3, v6
	s_clause 0x3
	global_load_b128 v[37:40], v45, s[8:9] offset:144
	global_load_b128 v[41:44], v6, s[8:9] offset:112
	;; [unrolled: 1-line block ×4, first 2 shown]
	v_lshrrev_b32_e32 v14, 4, v36
	v_lshrrev_b32_e32 v6, 4, v35
	ds_load_b32 v73, v24
	ds_load_b32 v74, v7
	;; [unrolled: 1-line block ×3, first 2 shown]
	ds_load_2addr_b32 v[59:60], v11 offset0:192 offset1:248
	ds_load_2addr_b32 v[61:62], v13 offset0:48 offset1:104
	v_mul_lo_u32 v14, 0x70, v14
	v_mul_u32_u24_e32 v6, 0x70, v6
	s_delay_alu instid0(VALU_DEP_1) | instskip(NEXT) | instid1(VALU_DEP_3)
	v_or_b32_e32 v6, v6, v63
	v_or_b32_e32 v14, v14, v64
	ds_load_2addr_b32 v[63:64], v13 offset0:160 offset1:216
	ds_load_2addr_b32 v[65:66], v5 offset1:168
	ds_load_2addr_b32 v[67:68], v11 offset0:24 offset1:136
	v_lshl_add_u32 v76, v6, 2, 0
	ds_load_b32 v6, v12
	v_lshl_add_u32 v77, v14, 2, 0
	s_waitcnt vmcnt(0) lgkmcnt(0)
	s_barrier
	buffer_gl0_inv
	v_mul_f32_e32 v79, v75, v30
	v_mul_f32_e32 v30, v70, v30
	;; [unrolled: 1-line block ×3, first 2 shown]
	v_dual_mul_f32 v32, v33, v32 :: v_dual_mul_f32 v85, v68, v46
	v_mul_f32_e32 v86, v60, v48
	v_mul_f32_e32 v84, v67, v44
	v_dual_mul_f32 v44, v57, v44 :: v_dual_fmac_f32 v79, v70, v29
	v_fma_f32 v29, v75, v29, -v30
	v_fma_f32 v30, v59, v31, -v32
	v_dual_mul_f32 v14, v73, v26 :: v_dual_fmac_f32 v85, v58, v45
	v_fmac_f32_e32 v86, v34, v47
	v_mul_f32_e32 v26, v71, v26
	v_fmac_f32_e32 v80, v33, v31
	v_fma_f32 v33, v67, v43, -v44
	v_dual_add_f32 v44, v29, v30 :: v_dual_sub_f32 v29, v30, v29
	v_fmac_f32_e32 v14, v71, v25
	v_fma_f32 v25, v73, v25, -v26
	v_mul_f32_e32 v26, v62, v50
	v_mul_f32_e32 v81, v61, v38
	v_fmac_f32_e32 v84, v57, v43
	v_dual_mul_f32 v82, v63, v40 :: v_dual_mul_f32 v83, v66, v42
	s_delay_alu instid0(VALU_DEP_4) | instskip(NEXT) | instid1(VALU_DEP_4)
	v_fmac_f32_e32 v26, v54, v49
	v_dual_mul_f32 v78, v74, v28 :: v_dual_fmac_f32 v81, v53, v37
	v_mul_f32_e32 v42, v10, v42
	s_delay_alu instid0(VALU_DEP_4) | instskip(NEXT) | instid1(VALU_DEP_3)
	v_dual_fmac_f32 v82, v55, v39 :: v_dual_fmac_f32 v83, v10, v41
	v_fmac_f32_e32 v78, v69, v27
	s_delay_alu instid0(VALU_DEP_3) | instskip(NEXT) | instid1(VALU_DEP_2)
	v_fma_f32 v10, v66, v41, -v42
	v_dual_sub_f32 v43, v78, v81 :: v_dual_mul_f32 v40, v55, v40
	s_delay_alu instid0(VALU_DEP_1) | instskip(SKIP_1) | instid1(VALU_DEP_2)
	v_fma_f32 v32, v63, v39, -v40
	v_add_f32_e32 v40, v14, v82
	v_dual_sub_f32 v14, v14, v82 :: v_dual_add_f32 v41, v25, v32
	v_dual_sub_f32 v25, v25, v32 :: v_dual_mul_f32 v46, v58, v46
	v_add_f32_e32 v32, v78, v81
	v_mul_f32_e32 v38, v53, v38
	s_delay_alu instid0(VALU_DEP_1) | instskip(NEXT) | instid1(VALU_DEP_4)
	v_fma_f32 v31, v61, v37, -v38
	v_fma_f32 v37, v68, v45, -v46
	v_dual_sub_f32 v45, v80, v79 :: v_dual_mul_f32 v28, v69, v28
	s_delay_alu instid0(VALU_DEP_1) | instskip(SKIP_2) | instid1(VALU_DEP_4)
	v_add_f32_e32 v53, v45, v43
	v_sub_f32_e32 v55, v45, v43
	v_sub_f32_e32 v45, v14, v45
	v_fma_f32 v27, v74, v27, -v28
	v_mul_f32_e32 v28, v64, v52
	v_dual_mul_f32 v52, v56, v52 :: v_dual_sub_f32 v43, v43, v14
	v_dual_add_f32 v14, v53, v14 :: v_dual_mul_f32 v53, 0x3f08b237, v55
	s_delay_alu instid0(VALU_DEP_3) | instskip(NEXT) | instid1(VALU_DEP_3)
	v_fmac_f32_e32 v28, v56, v51
	v_fma_f32 v39, v64, v51, -v52
	v_add_f32_e32 v42, v27, v31
	v_sub_f32_e32 v27, v27, v31
	v_add_f32_e32 v31, v79, v80
	v_add_f32_e32 v30, v83, v28
	;; [unrolled: 1-line block ×3, first 2 shown]
	v_dual_sub_f32 v10, v10, v39 :: v_dual_add_f32 v39, v84, v26
	v_dual_mul_f32 v48, v34, v48 :: v_dual_mul_f32 v55, 0xbf5ff5aa, v43
	v_dual_sub_f32 v51, v32, v40 :: v_dual_sub_f32 v56, v29, v27
	s_delay_alu instid0(VALU_DEP_3) | instskip(NEXT) | instid1(VALU_DEP_3)
	v_sub_f32_e32 v59, v39, v30
	v_fma_f32 v34, v60, v47, -v48
	v_fma_f32 v43, 0xbf5ff5aa, v43, -v53
	s_delay_alu instid0(VALU_DEP_2) | instskip(SKIP_4) | instid1(VALU_DEP_4)
	v_add_f32_e32 v48, v37, v34
	v_dual_sub_f32 v34, v34, v37 :: v_dual_add_f32 v37, v32, v40
	v_mul_f32_e32 v50, v54, v50
	v_sub_f32_e32 v40, v40, v31
	v_dual_sub_f32 v32, v31, v32 :: v_dual_fmac_f32 v43, 0xbee1c552, v14
	v_add_f32_e32 v31, v31, v37
	s_delay_alu instid0(VALU_DEP_4) | instskip(SKIP_1) | instid1(VALU_DEP_3)
	v_fma_f32 v38, v62, v49, -v50
	v_add_f32_e32 v50, v42, v41
	v_dual_mul_f32 v40, 0x3f4a47b2, v40 :: v_dual_add_f32 v9, v9, v31
	s_delay_alu instid0(VALU_DEP_3) | instskip(NEXT) | instid1(VALU_DEP_3)
	v_add_f32_e32 v47, v33, v38
	v_add_f32_e32 v37, v44, v50
	v_sub_f32_e32 v33, v33, v38
	v_add_f32_e32 v57, v39, v30
	v_fmamk_f32 v31, v31, 0xbf955555, v9
	s_delay_alu instid0(VALU_DEP_4) | instskip(SKIP_3) | instid1(VALU_DEP_4)
	v_add_f32_e32 v65, v65, v37
	v_dual_sub_f32 v52, v42, v41 :: v_dual_sub_f32 v41, v41, v44
	v_sub_f32_e32 v42, v44, v42
	v_mul_f32_e32 v44, 0x3d64c772, v32
	v_dual_fmamk_f32 v37, v37, 0xbf955555, v65 :: v_dual_add_f32 v62, v34, v33
	v_sub_f32_e32 v64, v34, v33
	v_sub_f32_e32 v34, v10, v34
	;; [unrolled: 1-line block ×3, first 2 shown]
	s_delay_alu instid0(VALU_DEP_4) | instskip(SKIP_2) | instid1(VALU_DEP_2)
	v_dual_mul_f32 v41, 0x3f4a47b2, v41 :: v_dual_add_f32 v10, v62, v10
	v_dual_add_f32 v54, v29, v27 :: v_dual_sub_f32 v27, v27, v25
	v_dual_sub_f32 v29, v25, v29 :: v_dual_mul_f32 v50, 0x3d64c772, v42
	v_dual_fmamk_f32 v32, v32, 0x3d64c772, v40 :: v_dual_add_f32 v25, v54, v25
	v_mul_f32_e32 v54, 0x3f08b237, v56
	s_delay_alu instid0(VALU_DEP_4)
	v_mul_f32_e32 v56, 0xbf5ff5aa, v27
	v_fmamk_f32 v42, v42, 0x3d64c772, v41
	v_fma_f32 v44, 0x3f3bfb3b, v51, -v44
	v_fma_f32 v50, 0x3f3bfb3b, v52, -v50
	;; [unrolled: 1-line block ×4, first 2 shown]
	v_dual_fmamk_f32 v51, v45, 0xbeae86e6, v53 :: v_dual_add_f32 v58, v47, v46
	v_fmamk_f32 v52, v29, 0xbeae86e6, v54
	v_fma_f32 v29, 0x3eae86e6, v29, -v56
	v_sub_f32_e32 v60, v47, v46
	v_fma_f32 v27, 0xbf5ff5aa, v27, -v54
	v_add_f32_e32 v38, v85, v86
	v_fmac_f32_e32 v52, 0xbee1c552, v25
	v_dual_fmac_f32 v29, 0xbee1c552, v25 :: v_dual_sub_f32 v46, v46, v48
	v_sub_f32_e32 v47, v48, v47
	v_add_f32_e32 v48, v48, v58
	v_fma_f32 v45, 0x3eae86e6, v45, -v55
	v_fmac_f32_e32 v27, 0xbee1c552, v25
	v_sub_f32_e32 v39, v38, v39
	v_mul_f32_e32 v58, 0x3d64c772, v47
	v_add_f32_e32 v54, v6, v48
	v_dual_sub_f32 v49, v86, v85 :: v_dual_mul_f32 v46, 0x3f4a47b2, v46
	v_mul_f32_e32 v62, 0x3f08b237, v64
	s_delay_alu instid0(VALU_DEP_4) | instskip(NEXT) | instid1(VALU_DEP_4)
	v_fma_f32 v55, 0x3f3bfb3b, v60, -v58
	v_dual_fmamk_f32 v25, v48, 0xbf955555, v54 :: v_dual_sub_f32 v30, v30, v38
	v_sub_f32_e32 v26, v84, v26
	v_add_f32_e32 v38, v38, v57
	v_dual_sub_f32 v28, v83, v28 :: v_dual_mul_f32 v57, 0x3d64c772, v39
	s_delay_alu instid0(VALU_DEP_4) | instskip(SKIP_1) | instid1(VALU_DEP_4)
	v_mul_f32_e32 v30, 0x3f4a47b2, v30
	v_fmac_f32_e32 v45, 0xbee1c552, v14
	v_dual_add_f32 v53, v72, v38 :: v_dual_mul_f32 v64, 0xbf5ff5aa, v33
	v_fmac_f32_e32 v51, 0xbee1c552, v14
	s_delay_alu instid0(VALU_DEP_4)
	v_fmamk_f32 v6, v39, 0x3d64c772, v30
	v_fmamk_f32 v39, v47, 0x3d64c772, v46
	v_fma_f32 v47, 0x3f3bfb3b, v59, -v57
	v_fmamk_f32 v57, v34, 0xbeae86e6, v62
	v_add_f32_e32 v61, v49, v26
	v_dual_sub_f32 v63, v49, v26 :: v_dual_sub_f32 v26, v26, v28
	v_sub_f32_e32 v49, v28, v49
	v_fma_f32 v34, 0x3eae86e6, v34, -v64
	s_delay_alu instid0(VALU_DEP_3) | instskip(NEXT) | instid1(VALU_DEP_4)
	v_dual_add_f32 v28, v61, v28 :: v_dual_mul_f32 v61, 0x3f08b237, v63
	v_mul_f32_e32 v63, 0xbf5ff5aa, v26
	v_fma_f32 v30, 0xbf3bfb3b, v59, -v30
	v_fmamk_f32 v14, v38, 0xbf955555, v53
	v_fmac_f32_e32 v57, 0xbee1c552, v10
	v_fmamk_f32 v56, v49, 0xbeae86e6, v61
	v_fma_f32 v58, 0xbf5ff5aa, v26, -v61
	v_fma_f32 v26, 0xbf5ff5aa, v33, -v62
	;; [unrolled: 1-line block ×3, first 2 shown]
	v_fmac_f32_e32 v34, 0xbee1c552, v10
	v_fmac_f32_e32 v56, 0xbee1c552, v28
	;; [unrolled: 1-line block ×3, first 2 shown]
	s_delay_alu instid0(VALU_DEP_4)
	v_dual_fmac_f32 v26, 0xbee1c552, v10 :: v_dual_fmac_f32 v33, 0xbee1c552, v28
	v_add_f32_e32 v10, v32, v31
	v_add_f32_e32 v28, v42, v37
	;; [unrolled: 1-line block ×4, first 2 shown]
	v_fma_f32 v46, 0xbf3bfb3b, v60, -v46
	v_add_f32_e32 v32, v44, v31
	v_dual_add_f32 v31, v40, v31 :: v_dual_add_f32 v6, v6, v14
	v_add_f32_e32 v40, v47, v14
	v_dual_add_f32 v14, v30, v14 :: v_dual_add_f32 v39, v39, v25
	;; [unrolled: 2-line block ×3, first 2 shown]
	v_add_f32_e32 v44, v29, v31
	v_sub_f32_e32 v47, v32, v27
	v_add_f32_e32 v27, v27, v32
	v_sub_f32_e32 v29, v31, v29
	v_dual_add_f32 v31, v45, v37 :: v_dual_sub_f32 v10, v10, v52
	v_sub_f32_e32 v46, v37, v45
	v_add_f32_e32 v48, v43, v38
	v_dual_sub_f32 v32, v38, v43 :: v_dual_add_f32 v37, v57, v6
	v_add_f32_e32 v43, v34, v14
	v_dual_sub_f32 v45, v40, v26 :: v_dual_add_f32 v26, v26, v40
	v_sub_f32_e32 v14, v14, v34
	v_sub_f32_e32 v6, v6, v57
	ds_store_2addr_b32 v76, v9, v25 offset1:16
	ds_store_2addr_b32 v76, v44, v47 offset0:32 offset1:48
	ds_store_2addr_b32 v76, v27, v29 offset0:64 offset1:80
	ds_store_b32 v76, v10 offset:384
	ds_store_2addr_b32 v77, v53, v37 offset1:16
	ds_store_2addr_b32 v77, v43, v45 offset0:32 offset1:48
	ds_store_2addr_b32 v77, v26, v14 offset0:64 offset1:80
	ds_store_b32 v77, v6 offset:384
	s_waitcnt lgkmcnt(0)
	s_barrier
	buffer_gl0_inv
	ds_load_2addr_b32 v[5:6], v5 offset1:168
	ds_load_b32 v25, v7
	ds_load_b32 v26, v8
	ds_load_2addr_b32 v[9:10], v11 offset0:192 offset1:248
	ds_load_2addr_b32 v[7:8], v13 offset0:48 offset1:104
	;; [unrolled: 1-line block ×3, first 2 shown]
	ds_load_b32 v27, v24
	ds_load_b32 v24, v12
	ds_load_2addr_b32 v[11:12], v11 offset0:24 offset1:136
	v_sub_f32_e32 v42, v28, v51
	v_add_f32_e32 v28, v51, v28
	v_dual_sub_f32 v38, v39, v56 :: v_dual_sub_f32 v29, v30, v33
	v_dual_add_f32 v34, v58, v41 :: v_dual_sub_f32 v37, v41, v58
	v_dual_add_f32 v30, v33, v30 :: v_dual_add_f32 v33, v56, v39
	s_waitcnt lgkmcnt(0)
	s_barrier
	buffer_gl0_inv
	ds_store_2addr_b32 v76, v65, v42 offset1:16
	ds_store_2addr_b32 v76, v46, v48 offset0:32 offset1:48
	ds_store_2addr_b32 v76, v32, v31 offset0:64 offset1:80
	ds_store_b32 v76, v28 offset:384
	ds_store_2addr_b32 v77, v54, v38 offset1:16
	ds_store_2addr_b32 v77, v29, v34 offset0:32 offset1:48
	ds_store_2addr_b32 v77, v37, v30 offset0:64 offset1:80
	ds_store_b32 v77, v33 offset:384
	s_waitcnt lgkmcnt(0)
	s_barrier
	buffer_gl0_inv
	s_and_saveexec_b32 s2, vcc_lo
	s_cbranch_execz .LBB0_15
; %bb.14:
	v_mul_u32_u24_e32 v28, 6, v35
	v_sub_nc_u32_e32 v21, 0, v21
	v_mul_lo_u32 v34, s1, v3
	v_mul_lo_u32 v4, s0, v4
	v_sub_nc_u32_e32 v22, 0, v22
	v_dual_mov_b32 v33, 0 :: v_dual_lshlrev_b32 v32, 3, v28
	v_add_nc_u32_e32 v16, v16, v21
	v_sub_nc_u32_e32 v23, 0, v23
	v_lshlrev_b64 v[1:2], 3, v[1:2]
	s_clause 0x2
	global_load_b128 v[28:31], v32, s[8:9] offset:880
	global_load_b128 v[37:40], v32, s[8:9] offset:912
	;; [unrolled: 1-line block ×3, first 2 shown]
	v_mul_i32_i24_e32 v32, 6, v36
	v_add_nc_u32_e32 v36, 56, v35
	s_delay_alu instid0(VALU_DEP_2) | instskip(NEXT) | instid1(VALU_DEP_1)
	v_lshlrev_b64 v[32:33], 3, v[32:33]
	v_add_co_u32 v32, vcc_lo, s8, v32
	s_delay_alu instid0(VALU_DEP_2)
	v_add_co_ci_u32_e32 v33, vcc_lo, s9, v33, vcc_lo
	s_clause 0x2
	global_load_b128 v[45:48], v[32:33], off offset:880
	global_load_b128 v[49:52], v[32:33], off offset:912
	;; [unrolled: 1-line block ×3, first 2 shown]
	v_sub_nc_u32_e32 v32, 0, v19
	v_sub_nc_u32_e32 v33, 0, v20
	v_mad_u64_u32 v[19:20], null, s0, v3, 0
	v_lshrrev_b32_e32 v3, 4, v35
	s_delay_alu instid0(VALU_DEP_1) | instskip(NEXT) | instid1(VALU_DEP_3)
	v_mul_hi_u32 v21, 0x24924925, v3
	v_add3_u32 v20, v20, v4, v34
	s_delay_alu instid0(VALU_DEP_2) | instskip(NEXT) | instid1(VALU_DEP_1)
	v_mul_lo_u32 v34, 0x70, v21
	v_sub_nc_u32_e32 v68, v35, v34
	s_delay_alu instid0(VALU_DEP_1)
	v_add_nc_u32_e32 v72, 0xe0, v68
	v_add_nc_u32_e32 v73, 0x150, v68
	;; [unrolled: 1-line block ×5, first 2 shown]
	v_mad_u64_u32 v[34:35], null, s12, v72, 0
	v_add_nc_u32_e32 v17, v17, v22
	v_lshrrev_b32_e32 v22, 4, v36
	v_mad_u64_u32 v[57:58], null, s12, v73, 0
	v_add_nc_u32_e32 v15, v15, v33
	v_mad_u64_u32 v[61:62], null, s12, v75, 0
	v_add_nc_u32_e32 v0, v0, v32
	v_mul_hi_u32 v67, 0x24924925, v22
	v_mad_u64_u32 v[59:60], null, s12, v74, 0
	v_add_nc_u32_e32 v18, v18, v23
	ds_load_2addr_b32 v[3:4], v0 offset1:168
	ds_load_b32 v77, v15
	ds_load_b32 v78, v16
	v_lshlrev_b64 v[15:16], 3, v[19:20]
	v_mad_u64_u32 v[63:64], null, s12, v76, 0
	v_add_nc_u32_e32 v23, 0x800, v0
	v_add_nc_u32_e32 v0, 0x400, v0
	ds_load_b32 v79, v18
	ds_load_b32 v80, v17
	ds_load_2addr_b32 v[17:18], v23 offset0:160 offset1:216
	ds_load_2addr_b32 v[19:20], v0 offset0:192 offset1:248
	;; [unrolled: 1-line block ×4, first 2 shown]
	v_add_co_u32 v0, vcc_lo, s6, v15
	v_mul_lo_u32 v23, 0x70, v67
	v_add_co_ci_u32_e32 v15, vcc_lo, s7, v16, vcc_lo
	v_add_nc_u32_e32 v71, 0x70, v68
	s_delay_alu instid0(VALU_DEP_4) | instskip(NEXT) | instid1(VALU_DEP_3)
	v_add_co_u32 v81, vcc_lo, v0, v1
	v_add_co_ci_u32_e32 v82, vcc_lo, v15, v2, vcc_lo
	v_mad_u64_u32 v[0:1], null, s12, v68, 0
	s_delay_alu instid0(VALU_DEP_4) | instskip(SKIP_4) | instid1(VALU_DEP_3)
	v_mad_u64_u32 v[15:16], null, s12, v71, 0
	v_sub_nc_u32_e32 v2, v36, v23
	v_mov_b32_e32 v23, v60
	v_mov_b32_e32 v36, v64
	s_waitcnt lgkmcnt(8)
	v_mad_u64_u32 v[65:66], null, 0x310, v67, v[2:3]
	v_mad_u64_u32 v[66:67], null, s13, v68, v[1:2]
	v_dual_mov_b32 v1, v16 :: v_dual_mov_b32 v2, v35
	v_mov_b32_e32 v16, v58
	v_mov_b32_e32 v35, v62
	v_mad_u64_u32 v[67:68], null, s12, v65, 0
	s_delay_alu instid0(VALU_DEP_4) | instskip(SKIP_3) | instid1(VALU_DEP_4)
	v_mad_u64_u32 v[69:70], null, s13, v71, v[1:2]
	v_mad_u64_u32 v[70:71], null, s13, v72, v[2:3]
	s_waitcnt lgkmcnt(3)
	v_mad_u64_u32 v[71:72], null, s13, v73, v[16:17]
	v_mov_b32_e32 v2, v68
	v_add_nc_u32_e32 v84, 0xe0, v65
	v_dual_mov_b32 v16, v69 :: v_dual_mov_b32 v1, v66
	s_delay_alu instid0(VALU_DEP_3) | instskip(SKIP_1) | instid1(VALU_DEP_3)
	v_mad_u64_u32 v[68:69], null, s13, v65, v[2:3]
	v_mov_b32_e32 v58, v71
	v_lshlrev_b64 v[0:1], 3, v[0:1]
	s_delay_alu instid0(VALU_DEP_4) | instskip(NEXT) | instid1(VALU_DEP_3)
	v_lshlrev_b64 v[15:16], 3, v[15:16]
	v_lshlrev_b64 v[57:58], 3, v[57:58]
	;; [unrolled: 1-line block ×3, first 2 shown]
	s_delay_alu instid0(VALU_DEP_4)
	v_add_co_u32 v0, vcc_lo, v81, v0
	v_add_co_ci_u32_e32 v1, vcc_lo, v82, v1, vcc_lo
	v_add_co_u32 v15, vcc_lo, v81, v15
	v_add_co_ci_u32_e32 v16, vcc_lo, v82, v16, vcc_lo
	s_waitcnt vmcnt(4)
	v_mul_f32_e32 v71, v7, v37
	v_mad_u64_u32 v[72:73], null, s13, v74, v[23:24]
	v_add_nc_u32_e32 v83, 0x70, v65
	v_mad_u64_u32 v[73:74], null, s13, v75, v[35:36]
	v_mad_u64_u32 v[74:75], null, s13, v76, v[36:37]
	s_delay_alu instid0(VALU_DEP_4) | instskip(NEXT) | instid1(VALU_DEP_4)
	v_dual_mov_b32 v35, v70 :: v_dual_mov_b32 v60, v72
	v_mad_u64_u32 v[75:76], null, s12, v83, 0
	v_mul_f32_e32 v23, v13, v39
	s_waitcnt vmcnt(3)
	v_mul_f32_e32 v36, v9, v43
	v_dual_mul_f32 v68, v26, v41 :: v_dual_mul_f32 v13, v13, v40
	v_dual_mov_b32 v62, v73 :: v_dual_mul_f32 v7, v7, v38
	v_mov_b32_e32 v2, v76
	v_dual_mov_b32 v64, v74 :: v_dual_mul_f32 v9, v9, v44
	v_fmac_f32_e32 v23, v17, v40
	s_waitcnt lgkmcnt(2)
	v_fmac_f32_e32 v36, v19, v44
	v_mad_u64_u32 v[69:70], null, s13, v83, v[2:3]
	s_waitcnt lgkmcnt(0)
	v_dual_mul_f32 v2, v27, v28 :: v_dual_fmac_f32 v71, v32, v38
	v_dual_mul_f32 v70, v25, v30 :: v_dual_mul_f32 v27, v27, v29
	s_delay_alu instid0(VALU_DEP_2)
	v_dual_mul_f32 v25, v25, v31 :: v_dual_fmac_f32 v2, v78, v29
	v_fma_f32 v13, v17, v39, -v13
	s_waitcnt vmcnt(0)
	v_mul_f32_e32 v29, v54, v22
	v_fma_f32 v17, v78, v28, -v27
	v_mul_f32_e32 v27, v52, v18
	v_fmac_f32_e32 v68, v79, v42
	v_mul_f32_e32 v26, v26, v42
	v_fmac_f32_e32 v70, v80, v31
	v_fma_f32 v9, v19, v43, -v9
	v_fma_f32 v7, v32, v37, -v7
	;; [unrolled: 1-line block ×4, first 2 shown]
	v_mul_f32_e32 v31, v50, v33
	v_dual_sub_f32 v41, v2, v23 :: v_dual_sub_f32 v42, v36, v68
	v_dual_fmac_f32 v27, v14, v51 :: v_dual_add_f32 v44, v17, v13
	v_dual_sub_f32 v13, v17, v13 :: v_dual_mul_f32 v28, v56, v20
	v_sub_f32_e32 v43, v70, v71
	v_mul_f32_e32 v25, v6, v45
	v_mul_f32_e32 v30, v48, v21
	v_dual_mul_f32 v32, v14, v52 :: v_dual_mul_f32 v37, v12, v54
	v_mul_f32_e32 v6, v6, v46
	v_dual_mul_f32 v38, v10, v56 :: v_dual_mul_f32 v39, v8, v50
	v_dual_mul_f32 v40, v11, v48 :: v_dual_fmac_f32 v25, v4, v46
	v_dual_add_f32 v48, v9, v26 :: v_dual_fmac_f32 v29, v12, v53
	v_dual_add_f32 v50, v19, v7 :: v_dual_fmac_f32 v31, v8, v49
	v_sub_f32_e32 v9, v9, v26
	v_sub_f32_e32 v7, v19, v7
	;; [unrolled: 1-line block ×3, first 2 shown]
	v_dual_add_f32 v2, v2, v23 :: v_dual_sub_f32 v19, v44, v48
	v_dual_add_f32 v23, v36, v68 :: v_dual_add_f32 v36, v70, v71
	v_fmac_f32_e32 v28, v10, v55
	v_fmac_f32_e32 v30, v11, v47
	v_fma_f32 v8, v51, v18, -v32
	v_fma_f32 v4, v4, v45, -v6
	v_fma_f32 v6, v53, v22, -v37
	v_fma_f32 v10, v55, v20, -v38
	v_fma_f32 v11, v49, v33, -v39
	v_sub_f32_e32 v39, v50, v44
	v_fma_f32 v12, v47, v21, -v40
	v_add_f32_e32 v18, v42, v43
	v_dual_sub_f32 v20, v48, v50 :: v_dual_sub_f32 v37, v9, v7
	v_dual_add_f32 v21, v44, v50 :: v_dual_sub_f32 v26, v23, v36
	s_delay_alu instid0(VALU_DEP_4)
	v_dual_add_f32 v32, v2, v36 :: v_dual_add_f32 v45, v12, v11
	v_sub_f32_e32 v33, v13, v9
	v_dual_add_f32 v9, v9, v7 :: v_dual_sub_f32 v38, v43, v41
	v_dual_sub_f32 v14, v41, v42 :: v_dual_sub_f32 v7, v7, v13
	v_sub_f32_e32 v22, v2, v23
	v_sub_f32_e32 v36, v36, v2
	;; [unrolled: 1-line block ×3, first 2 shown]
	v_dual_sub_f32 v42, v30, v31 :: v_dual_add_f32 v23, v23, v32
	v_add_f32_e32 v43, v4, v8
	v_sub_f32_e32 v2, v28, v29
	v_dual_add_f32 v44, v10, v6 :: v_dual_add_f32 v9, v13, v9
	v_add_f32_e32 v25, v25, v27
	v_dual_add_f32 v27, v28, v29 :: v_dual_add_f32 v28, v30, v31
	v_dual_mul_f32 v13, 0xbf5ff5aa, v38 :: v_dual_sub_f32 v4, v4, v8
	v_dual_mul_f32 v29, 0xbf5ff5aa, v7 :: v_dual_sub_f32 v6, v10, v6
	v_dual_sub_f32 v8, v12, v11 :: v_dual_add_f32 v11, v41, v18
	v_dual_sub_f32 v31, v2, v42 :: v_dual_add_f32 v18, v48, v21
	v_add_f32_e32 v49, v25, v28
	v_mul_f32_e32 v21, 0x3d64c772, v26
	v_mul_f32_e32 v26, 0x3f08b237, v37
	v_dual_mul_f32 v10, 0x3f08b237, v17 :: v_dual_sub_f32 v47, v25, v27
	v_dual_mul_f32 v12, 0x3f4a47b2, v19 :: v_dual_sub_f32 v41, v44, v45
	v_dual_mul_f32 v17, 0x3d64c772, v20 :: v_dual_add_f32 v32, v2, v42
	v_sub_f32_e32 v25, v28, v25
	v_dual_sub_f32 v37, v43, v44 :: v_dual_mul_f32 v20, 0x3f4a47b2, v22
	v_dual_sub_f32 v51, v6, v8 :: v_dual_add_f32 v46, v43, v45
	v_sub_f32_e32 v50, v4, v6
	v_dual_add_f32 v6, v6, v8 :: v_dual_add_f32 v3, v3, v18
	v_dual_sub_f32 v43, v45, v43 :: v_dual_sub_f32 v8, v8, v4
	v_dual_fmamk_f32 v45, v33, 0xbeae86e6, v26 :: v_dual_sub_f32 v30, v40, v2
	v_fmamk_f32 v19, v19, 0x3f4a47b2, v17
	v_sub_f32_e32 v48, v27, v28
	v_sub_f32_e32 v42, v42, v40
	v_dual_fmamk_f32 v28, v14, 0xbeae86e6, v10 :: v_dual_add_f32 v27, v27, v49
	v_fma_f32 v13, 0x3eae86e6, v14, -v13
	v_fma_f32 v14, 0x3eae86e6, v33, -v29
	;; [unrolled: 1-line block ×3, first 2 shown]
	v_mul_f32_e32 v33, 0x3f4a47b2, v47
	v_add_f32_e32 v2, v5, v23
	v_fma_f32 v5, 0xbf3bfb3b, v39, -v12
	v_mul_f32_e32 v39, 0xbf5ff5aa, v8
	v_fma_f32 v12, 0xbf3bfb3b, v36, -v20
	v_fma_f32 v20, 0xbf5ff5aa, v7, -v26
	;; [unrolled: 1-line block ×3, first 2 shown]
	v_dual_add_f32 v26, v40, v32 :: v_dual_fmamk_f32 v23, v23, 0xbf955555, v2
	v_dual_add_f32 v32, v44, v46 :: v_dual_fmac_f32 v45, 0xbee1c552, v9
	v_fmamk_f32 v22, v22, 0x3f4a47b2, v21
	v_mul_f32_e32 v21, 0x3f08b237, v31
	v_mul_f32_e32 v31, 0x3d64c772, v41
	v_fma_f32 v10, 0xbf5ff5aa, v38, -v10
	v_mul_f32_e32 v29, 0x3f4a47b2, v37
	global_store_b64 v[0:1], v[2:3], off
	v_add_f32_e32 v1, v77, v32
	v_dual_fmamk_f32 v37, v37, 0x3f4a47b2, v31 :: v_dual_add_f32 v0, v24, v27
	v_fmamk_f32 v18, v18, 0xbf955555, v3
	v_mul_f32_e32 v38, 0x3f08b237, v51
	v_dual_add_f32 v4, v4, v6 :: v_dual_fmac_f32 v13, 0xbee1c552, v11
	v_mul_f32_e32 v6, 0xbf5ff5aa, v42
	v_fmac_f32_e32 v10, 0xbee1c552, v11
	v_fma_f32 v39, 0x3eae86e6, v50, -v39
	v_dual_fmac_f32 v28, 0xbee1c552, v11 :: v_dual_add_f32 v11, v5, v18
	v_lshlrev_b64 v[34:35], 3, v[34:35]
	v_fmamk_f32 v40, v30, 0xbeae86e6, v21
	v_fma_f32 v21, 0xbf5ff5aa, v42, -v21
	v_fmac_f32_e32 v39, 0xbee1c552, v4
	v_add_f32_e32 v5, v13, v11
	v_dual_add_f32 v22, v22, v23 :: v_dual_sub_f32 v11, v11, v13
	v_fmamk_f32 v24, v50, 0xbeae86e6, v38
	v_fma_f32 v38, 0xbf5ff5aa, v8, -v38
	v_add_f32_e32 v8, v17, v18
	v_add_f32_e32 v12, v12, v23
	;; [unrolled: 1-line block ×3, first 2 shown]
	v_fma_f32 v30, 0x3eae86e6, v30, -v6
	v_fmamk_f32 v23, v27, 0xbf955555, v0
	v_dual_mul_f32 v36, 0x3d64c772, v48 :: v_dual_add_f32 v19, v19, v18
	v_lshlrev_b64 v[59:60], 3, v[59:60]
	v_add_co_u32 v34, vcc_lo, v81, v34
	v_add_co_ci_u32_e32 v35, vcc_lo, v82, v35, vcc_lo
	v_lshlrev_b64 v[61:62], 3, v[61:62]
	v_add_co_u32 v57, vcc_lo, v81, v57
	v_dual_fmac_f32 v14, 0xbee1c552, v9 :: v_dual_fmac_f32 v21, 0xbee1c552, v26
	v_dual_fmac_f32 v20, 0xbee1c552, v9 :: v_dual_add_f32 v3, v28, v19
	v_fma_f32 v29, 0xbf3bfb3b, v43, -v29
	v_fmac_f32_e32 v30, 0xbee1c552, v26
	v_dual_fmamk_f32 v18, v32, 0xbf955555, v1 :: v_dual_sub_f32 v13, v19, v28
	v_dual_fmamk_f32 v41, v47, 0x3f4a47b2, v36 :: v_dual_sub_f32 v2, v22, v45
	v_add_co_ci_u32_e32 v58, vcc_lo, v82, v58, vcc_lo
	v_lshlrev_b64 v[63:64], 3, v[63:64]
	v_add_co_u32 v59, vcc_lo, v81, v59
	v_add_co_ci_u32_e32 v60, vcc_lo, v82, v60, vcc_lo
	v_fma_f32 v33, 0xbf3bfb3b, v25, -v33
	v_fma_f32 v31, 0x3f3bfb3b, v43, -v31
	;; [unrolled: 1-line block ×3, first 2 shown]
	v_fmac_f32_e32 v40, 0xbee1c552, v26
	v_dual_sub_f32 v7, v8, v10 :: v_dual_fmac_f32 v24, 0xbee1c552, v4
	v_dual_add_f32 v19, v29, v18 :: v_dual_add_f32 v6, v20, v17
	v_add_f32_e32 v9, v10, v8
	v_sub_f32_e32 v8, v17, v20
	v_dual_add_f32 v10, v14, v12 :: v_dual_add_nc_u32 v27, 0x230, v65
	v_dual_add_f32 v17, v41, v23 :: v_dual_fmac_f32 v38, 0xbee1c552, v4
	v_sub_f32_e32 v4, v12, v14
	v_add_f32_e32 v12, v45, v22
	v_add_co_u32 v61, vcc_lo, v81, v61
	v_add_co_ci_u32_e32 v62, vcc_lo, v82, v62, vcc_lo
	v_add_co_u32 v63, vcc_lo, v81, v63
	v_add_f32_e32 v20, v33, v23
	v_dual_add_f32 v22, v25, v23 :: v_dual_add_nc_u32 v23, 0x150, v65
	s_clause 0x4
	global_store_b64 v[15:16], v[12:13], off
	global_store_b64 v[34:35], v[10:11], off
	;; [unrolled: 1-line block ×5, first 2 shown]
	v_sub_f32_e32 v13, v19, v30
	v_add_f32_e32 v14, v37, v18
	v_add_f32_e32 v18, v31, v18
	v_add_nc_u32_e32 v26, 0x1c0, v65
	v_add_co_ci_u32_e32 v64, vcc_lo, v82, v64, vcc_lo
	v_add_co_u32 v66, vcc_lo, v81, v66
	v_add_co_ci_u32_e32 v67, vcc_lo, v82, v67, vcc_lo
	v_dual_add_f32 v5, v40, v14 :: v_dual_sub_f32 v4, v17, v24
	v_sub_f32_e32 v9, v18, v21
	v_add_f32_e32 v7, v30, v19
	v_add_f32_e32 v11, v21, v18
	v_dual_sub_f32 v15, v14, v40 :: v_dual_add_f32 v14, v24, v17
	v_mov_b32_e32 v76, v69
	v_mad_u64_u32 v[16:17], null, s12, v84, 0
	v_mad_u64_u32 v[18:19], null, s12, v26, 0
	global_store_b64 v[63:64], v[2:3], off
	v_mad_u64_u32 v[2:3], null, s12, v23, 0
	global_store_b64 v[66:67], v[0:1], off
	v_lshlrev_b64 v[0:1], 3, v[75:76]
	v_sub_f32_e32 v6, v20, v39
	v_add_f32_e32 v12, v39, v20
	v_mad_u64_u32 v[20:21], null, s13, v84, v[17:18]
	v_add_f32_e32 v8, v38, v22
	v_sub_f32_e32 v10, v22, v38
	v_mad_u64_u32 v[21:22], null, s13, v23, v[3:4]
	v_mov_b32_e32 v3, v19
	v_mad_u64_u32 v[22:23], null, s12, v27, 0
	v_add_co_u32 v0, vcc_lo, v81, v0
	v_add_nc_u32_e32 v28, 0x2a0, v65
	v_add_co_ci_u32_e32 v1, vcc_lo, v82, v1, vcc_lo
	v_mad_u64_u32 v[24:25], null, s13, v26, v[3:4]
	v_mov_b32_e32 v3, v21
	s_delay_alu instid0(VALU_DEP_4) | instskip(SKIP_4) | instid1(VALU_DEP_2)
	v_mad_u64_u32 v[25:26], null, s12, v28, 0
	v_mov_b32_e32 v17, v20
	global_store_b64 v[0:1], v[14:15], off
	v_dual_mov_b32 v0, v23 :: v_dual_mov_b32 v19, v24
	v_lshlrev_b64 v[14:15], 3, v[16:17]
	v_mad_u64_u32 v[16:17], null, s13, v27, v[0:1]
	v_lshlrev_b64 v[1:2], 3, v[2:3]
	v_mov_b32_e32 v0, v26
	s_delay_alu instid0(VALU_DEP_4) | instskip(SKIP_2) | instid1(VALU_DEP_4)
	v_add_co_u32 v14, vcc_lo, v81, v14
	v_lshlrev_b64 v[17:18], 3, v[18:19]
	v_add_co_ci_u32_e32 v15, vcc_lo, v82, v15, vcc_lo
	v_mad_u64_u32 v[20:21], null, s13, v28, v[0:1]
	v_mov_b32_e32 v23, v16
	v_add_co_u32 v0, vcc_lo, v81, v1
	v_add_co_ci_u32_e32 v1, vcc_lo, v82, v2, vcc_lo
	s_delay_alu instid0(VALU_DEP_3) | instskip(SKIP_3) | instid1(VALU_DEP_3)
	v_lshlrev_b64 v[2:3], 3, v[22:23]
	v_mov_b32_e32 v26, v20
	v_add_co_u32 v16, vcc_lo, v81, v17
	v_add_co_ci_u32_e32 v17, vcc_lo, v82, v18, vcc_lo
	v_lshlrev_b64 v[18:19], 3, v[25:26]
	v_add_co_u32 v2, vcc_lo, v81, v2
	v_add_co_ci_u32_e32 v3, vcc_lo, v82, v3, vcc_lo
	s_delay_alu instid0(VALU_DEP_3) | instskip(NEXT) | instid1(VALU_DEP_4)
	v_add_co_u32 v18, vcc_lo, v81, v18
	v_add_co_ci_u32_e32 v19, vcc_lo, v82, v19, vcc_lo
	s_clause 0x4
	global_store_b64 v[14:15], v[12:13], off
	global_store_b64 v[0:1], v[10:11], off
	;; [unrolled: 1-line block ×5, first 2 shown]
.LBB0_15:
	s_nop 0
	s_sendmsg sendmsg(MSG_DEALLOC_VGPRS)
	s_endpgm
	.section	.rodata,"a",@progbits
	.p2align	6, 0x0
	.amdhsa_kernel fft_rtc_back_len784_factors_2_2_2_2_7_7_wgs_56_tpt_56_halfLds_sp_op_CI_CI_sbrr_dirReg
		.amdhsa_group_segment_fixed_size 0
		.amdhsa_private_segment_fixed_size 0
		.amdhsa_kernarg_size 104
		.amdhsa_user_sgpr_count 15
		.amdhsa_user_sgpr_dispatch_ptr 0
		.amdhsa_user_sgpr_queue_ptr 0
		.amdhsa_user_sgpr_kernarg_segment_ptr 1
		.amdhsa_user_sgpr_dispatch_id 0
		.amdhsa_user_sgpr_private_segment_size 0
		.amdhsa_wavefront_size32 1
		.amdhsa_uses_dynamic_stack 0
		.amdhsa_enable_private_segment 0
		.amdhsa_system_sgpr_workgroup_id_x 1
		.amdhsa_system_sgpr_workgroup_id_y 0
		.amdhsa_system_sgpr_workgroup_id_z 0
		.amdhsa_system_sgpr_workgroup_info 0
		.amdhsa_system_vgpr_workitem_id 0
		.amdhsa_next_free_vgpr 87
		.amdhsa_next_free_sgpr 31
		.amdhsa_reserve_vcc 1
		.amdhsa_float_round_mode_32 0
		.amdhsa_float_round_mode_16_64 0
		.amdhsa_float_denorm_mode_32 3
		.amdhsa_float_denorm_mode_16_64 3
		.amdhsa_dx10_clamp 1
		.amdhsa_ieee_mode 1
		.amdhsa_fp16_overflow 0
		.amdhsa_workgroup_processor_mode 1
		.amdhsa_memory_ordered 1
		.amdhsa_forward_progress 0
		.amdhsa_shared_vgpr_count 0
		.amdhsa_exception_fp_ieee_invalid_op 0
		.amdhsa_exception_fp_denorm_src 0
		.amdhsa_exception_fp_ieee_div_zero 0
		.amdhsa_exception_fp_ieee_overflow 0
		.amdhsa_exception_fp_ieee_underflow 0
		.amdhsa_exception_fp_ieee_inexact 0
		.amdhsa_exception_int_div_zero 0
	.end_amdhsa_kernel
	.text
.Lfunc_end0:
	.size	fft_rtc_back_len784_factors_2_2_2_2_7_7_wgs_56_tpt_56_halfLds_sp_op_CI_CI_sbrr_dirReg, .Lfunc_end0-fft_rtc_back_len784_factors_2_2_2_2_7_7_wgs_56_tpt_56_halfLds_sp_op_CI_CI_sbrr_dirReg
                                        ; -- End function
	.section	.AMDGPU.csdata,"",@progbits
; Kernel info:
; codeLenInByte = 9824
; NumSgprs: 33
; NumVgprs: 87
; ScratchSize: 0
; MemoryBound: 0
; FloatMode: 240
; IeeeMode: 1
; LDSByteSize: 0 bytes/workgroup (compile time only)
; SGPRBlocks: 4
; VGPRBlocks: 10
; NumSGPRsForWavesPerEU: 33
; NumVGPRsForWavesPerEU: 87
; Occupancy: 16
; WaveLimiterHint : 1
; COMPUTE_PGM_RSRC2:SCRATCH_EN: 0
; COMPUTE_PGM_RSRC2:USER_SGPR: 15
; COMPUTE_PGM_RSRC2:TRAP_HANDLER: 0
; COMPUTE_PGM_RSRC2:TGID_X_EN: 1
; COMPUTE_PGM_RSRC2:TGID_Y_EN: 0
; COMPUTE_PGM_RSRC2:TGID_Z_EN: 0
; COMPUTE_PGM_RSRC2:TIDIG_COMP_CNT: 0
	.text
	.p2alignl 7, 3214868480
	.fill 96, 4, 3214868480
	.type	__hip_cuid_4ed2e7525d77cdab,@object ; @__hip_cuid_4ed2e7525d77cdab
	.section	.bss,"aw",@nobits
	.globl	__hip_cuid_4ed2e7525d77cdab
__hip_cuid_4ed2e7525d77cdab:
	.byte	0                               ; 0x0
	.size	__hip_cuid_4ed2e7525d77cdab, 1

	.ident	"AMD clang version 19.0.0git (https://github.com/RadeonOpenCompute/llvm-project roc-6.4.0 25133 c7fe45cf4b819c5991fe208aaa96edf142730f1d)"
	.section	".note.GNU-stack","",@progbits
	.addrsig
	.addrsig_sym __hip_cuid_4ed2e7525d77cdab
	.amdgpu_metadata
---
amdhsa.kernels:
  - .args:
      - .actual_access:  read_only
        .address_space:  global
        .offset:         0
        .size:           8
        .value_kind:     global_buffer
      - .offset:         8
        .size:           8
        .value_kind:     by_value
      - .actual_access:  read_only
        .address_space:  global
        .offset:         16
        .size:           8
        .value_kind:     global_buffer
      - .actual_access:  read_only
        .address_space:  global
        .offset:         24
        .size:           8
        .value_kind:     global_buffer
      - .actual_access:  read_only
        .address_space:  global
        .offset:         32
        .size:           8
        .value_kind:     global_buffer
      - .offset:         40
        .size:           8
        .value_kind:     by_value
      - .actual_access:  read_only
        .address_space:  global
        .offset:         48
        .size:           8
        .value_kind:     global_buffer
      - .actual_access:  read_only
        .address_space:  global
        .offset:         56
        .size:           8
        .value_kind:     global_buffer
      - .offset:         64
        .size:           4
        .value_kind:     by_value
      - .actual_access:  read_only
        .address_space:  global
        .offset:         72
        .size:           8
        .value_kind:     global_buffer
      - .actual_access:  read_only
        .address_space:  global
        .offset:         80
        .size:           8
        .value_kind:     global_buffer
      - .actual_access:  read_only
        .address_space:  global
        .offset:         88
        .size:           8
        .value_kind:     global_buffer
      - .actual_access:  write_only
        .address_space:  global
        .offset:         96
        .size:           8
        .value_kind:     global_buffer
    .group_segment_fixed_size: 0
    .kernarg_segment_align: 8
    .kernarg_segment_size: 104
    .language:       OpenCL C
    .language_version:
      - 2
      - 0
    .max_flat_workgroup_size: 56
    .name:           fft_rtc_back_len784_factors_2_2_2_2_7_7_wgs_56_tpt_56_halfLds_sp_op_CI_CI_sbrr_dirReg
    .private_segment_fixed_size: 0
    .sgpr_count:     33
    .sgpr_spill_count: 0
    .symbol:         fft_rtc_back_len784_factors_2_2_2_2_7_7_wgs_56_tpt_56_halfLds_sp_op_CI_CI_sbrr_dirReg.kd
    .uniform_work_group_size: 1
    .uses_dynamic_stack: false
    .vgpr_count:     87
    .vgpr_spill_count: 0
    .wavefront_size: 32
    .workgroup_processor_mode: 1
amdhsa.target:   amdgcn-amd-amdhsa--gfx1100
amdhsa.version:
  - 1
  - 2
...

	.end_amdgpu_metadata
